;; amdgpu-corpus repo=FlagOpen/FlagGems kind=triton arch=gfx950 opt=O3 lang=triton
	.amdgcn_target "amdgcn-amd-amdhsa--gfx950"
	.amdhsa_code_object_version 5
	.text
	.globl	mm_kernel_general               ; -- Begin function mm_kernel_general
	.p2align	8
	.type	mm_kernel_general,@function
mm_kernel_general:                      ; @mm_kernel_general
.Lfunc_begin0:
	.cfi_sections .debug_frame
	.cfi_startproc
; %bb.116:
	.file	1 "/root/src/amdgpu-assembly/repos/FlagOpen__FlagGems/triton_aot_kernels" "mm_aot.py"
	.loc	1 13 0 prologue_end             ; mm_aot.py:13:0
	s_load_dwordx2 s[2:3], s[0:1], 0x0
	s_load_dwordx8 s[4:11], s[0:1], 0x8
	s_load_dwordx4 s[12:15], s[0:1], 0x28
	s_waitcnt lgkmcnt(0)
	s_branch .LBB0_0
	.loc	1 0 0 is_stmt 0                 ; :0:0
.Ltmp0:
	.p2align	8
; %bb.117:
.LBB0_0:
.Ltmp1:
	.file	2 "/root/.local/lib/python3.13/site-packages/triton/language" "standard.py"
	.loc	2 43 17 is_stmt 1               ; standard.py:43:17 @[ mm_aot.py:35:24 ]
	s_add_i32 s17, s9, 63
	.loc	2 43 30 is_stmt 0               ; standard.py:43:30 @[ mm_aot.py:35:24 ]
	s_ashr_i32 s19, s17, 31
	s_lshr_b32 s19, s19, 26
	s_add_i32 s17, s17, s19
	s_ashr_i32 s19, s17, 6
.Ltmp2:
	.loc	1 37 22 is_stmt 1               ; mm_aot.py:37:22
	s_lshl_b32 s19, s19, 3
	.loc	1 38 22                         ; mm_aot.py:38:22
	s_abs_i32 s20, s19
	v_cvt_f32_u32_e32 v1, s20
	s_sub_i32 s25, 0, s20
	s_mov_b32 s18, s13
.Ltmp3:
	.loc	2 43 17                         ; standard.py:43:17 @[ mm_aot.py:34:24 ]
	s_add_i32 s13, s8, 63
.Ltmp4:
	.loc	1 38 22                         ; mm_aot.py:38:22
	v_rcp_iflag_f32_e32 v1, v1
	s_abs_i32 s24, s16
.Ltmp5:
	.loc	2 43 30                         ; standard.py:43:30 @[ mm_aot.py:34:24 ]
	s_ashr_i32 s21, s13, 31
	s_lshr_b32 s21, s21, 26
.Ltmp6:
	.loc	1 38 22                         ; mm_aot.py:38:22
	v_mul_f32_e32 v1, 0x4f7ffffe, v1
	v_cvt_u32_f32_e32 v1, v1
	.loc	1 76 8                          ; mm_aot.py:76:8
	v_readfirstlane_b32 s22, v0
.Ltmp7:
	.loc	2 43 30                         ; standard.py:43:30 @[ mm_aot.py:34:24 ]
	s_add_i32 s13, s13, s21
.Ltmp8:
	.loc	1 38 22                         ; mm_aot.py:38:22
	s_ashr_i32 s21, s16, 31
	v_readfirstlane_b32 s26, v1
	s_mul_i32 s25, s25, s26
	s_mul_hi_u32 s25, s26, s25
	s_add_i32 s26, s26, s25
	s_mul_hi_u32 s25, s24, s26
	s_mul_i32 s26, s25, s20
	s_ashr_i32 s17, s17, 31
	s_sub_i32 s26, s24, s26
	.loc	1 95 16                         ; mm_aot.py:95:16
	s_and_b32 s23, s22, 0xc0
.Ltmp9:
	.loc	2 43 30                         ; standard.py:43:30 @[ mm_aot.py:34:24 ]
	s_ashr_i32 s13, s13, 6
.Ltmp10:
	.loc	1 38 22                         ; mm_aot.py:38:22
	s_xor_b32 s17, s21, s17
	s_add_i32 s27, s25, 1
	s_sub_i32 s28, s26, s20
	s_cmp_ge_u32 s26, s20
	s_cselect_b32 s25, s27, s25
	s_cselect_b32 s26, s28, s26
	s_add_i32 s27, s25, 1
	s_cmp_ge_u32 s26, s20
	s_cselect_b32 s20, s27, s25
	s_xor_b32 s20, s20, s17
	s_sub_i32 s17, s20, s17
	.loc	1 39 41                         ; mm_aot.py:39:41
	s_lshl_b32 s20, s17, 3
	.loc	1 39 30 is_stmt 0               ; mm_aot.py:39:30
	s_sub_i32 s13, s13, s20
	.loc	1 39 50                         ; mm_aot.py:39:50
	s_min_i32 s13, s13, 8
	.loc	1 40 40 is_stmt 1               ; mm_aot.py:40:40
	s_abs_i32 s25, s13
	v_cvt_f32_u32_e32 v1, s25
	s_sub_i32 s26, 0, s25
	.loc	1 41 19                         ; mm_aot.py:41:19
	s_mul_i32 s17, s17, s19
	.loc	1 43 40                         ; mm_aot.py:43:40
	v_and_b32_e32 v12, 63, v0
	.loc	1 40 40                         ; mm_aot.py:40:40
	v_rcp_iflag_f32_e32 v1, v1
	.loc	1 43 40                         ; mm_aot.py:43:40
	v_and_b32_e32 v56, 31, v0
	.loc	1 40 40                         ; mm_aot.py:40:40
	v_mul_f32_e32 v1, 0x4f7ffffe, v1
	v_cvt_u32_f32_e32 v1, v1
	s_nop 0
	v_readfirstlane_b32 s27, v1
	s_mul_i32 s26, s26, s27
	s_mul_hi_u32 s26, s27, s26
	s_add_i32 s27, s27, s26
	s_mul_hi_u32 s26, s24, s27
	s_mul_i32 s26, s26, s25
	s_sub_i32 s24, s24, s26
	s_sub_i32 s26, s24, s25
	s_cmp_ge_u32 s24, s25
	s_cselect_b32 s24, s26, s24
	s_sub_i32 s26, s24, s25
	s_cmp_ge_u32 s24, s25
	s_cselect_b32 s24, s26, s24
	.loc	1 41 19                         ; mm_aot.py:41:19
	s_sub_i32 s16, s16, s17
	.loc	1 41 30 is_stmt 0               ; mm_aot.py:41:30
	s_xor_b32 s13, s16, s13
	s_abs_i32 s16, s16
	s_mul_hi_u32 s17, s16, s27
	.loc	1 40 40 is_stmt 1               ; mm_aot.py:40:40
	s_xor_b32 s24, s24, s21
	.loc	1 41 30                         ; mm_aot.py:41:30
	s_mul_i32 s19, s17, s25
	.loc	1 40 40                         ; mm_aot.py:40:40
	s_sub_i32 s21, s24, s21
	.loc	1 41 30                         ; mm_aot.py:41:30
	s_sub_i32 s16, s16, s19
	.loc	1 40 34                         ; mm_aot.py:40:34
	s_add_i32 s20, s20, s21
	.loc	1 41 30                         ; mm_aot.py:41:30
	s_ashr_i32 s13, s13, 31
	s_add_i32 s19, s17, 1
	s_sub_i32 s21, s16, s25
	s_cmp_ge_u32 s16, s25
	s_cselect_b32 s17, s19, s17
	s_cselect_b32 s16, s21, s16
	s_add_i32 s19, s17, 1
	s_cmp_ge_u32 s16, s25
	s_cselect_b32 s16, s19, s17
	s_xor_b32 s16, s16, s13
	s_sub_i32 s25, s16, s13
	.loc	1 45 48                         ; mm_aot.py:45:48
	s_abs_i32 s13, s8
	v_cvt_f32_u32_e32 v2, s13
	.loc	1 43 40                         ; mm_aot.py:43:40
	v_or_b32_e32 v1, s23, v12
	.loc	1 43 17 is_stmt 0               ; mm_aot.py:43:17
	s_lshl_b32 s33, s20, 6
	.loc	1 43 40                         ; mm_aot.py:43:40
	v_lshrrev_b32_e32 v3, 5, v1
	.loc	1 45 48 is_stmt 1               ; mm_aot.py:45:48
	v_rcp_iflag_f32_e32 v2, v2
	s_sub_i32 s16, 0, s13
	.loc	1 43 27                         ; mm_aot.py:43:27
	v_or_b32_e32 v3, s33, v3
	.loc	1 45 48                         ; mm_aot.py:45:48
	s_bfe_i32 s19, s20, 0x10019
	v_mul_f32_e32 v2, 0x4f7ffffe, v2
	v_cvt_u32_f32_e32 v2, v2
	v_add_u32_e32 v13, s19, v3
	v_xor_b32_e32 v3, s19, v13
	.loc	1 46 48                         ; mm_aot.py:46:48
	s_abs_i32 s24, s9
	.loc	1 45 48                         ; mm_aot.py:45:48
	v_mul_lo_u32 v4, s16, v2
	v_mul_hi_u32 v4, v2, v4
	v_add_u32_e32 v26, v2, v4
	v_mul_hi_u32 v2, v3, v26
	v_mul_lo_u32 v2, v2, s13
	v_sub_u32_e32 v2, v3, v2
	v_subrev_u32_e32 v3, s13, v2
	v_cmp_le_u32_e32 vcc, s13, v2
	s_nop 1
	v_cndmask_b32_e32 v2, v2, v3, vcc
	v_subrev_u32_e32 v3, s13, v2
	v_cmp_le_u32_e32 vcc, s13, v2
	s_nop 1
	v_cndmask_b32_e32 v2, v2, v3, vcc
	v_add_u32_e32 v3, 8, v13
	v_xor_b32_e32 v15, s19, v3
	v_add_u32_e32 v3, 16, v13
	v_mad_u64_u32 v[4:5], s[16:17], v15, v26, 0
	v_xor_b32_e32 v14, s19, v3
	v_add_u32_e32 v3, 24, v13
	.loc	1 46 48                         ; mm_aot.py:46:48
	v_cvt_f32_u32_e32 v4, s24
	.loc	1 45 48                         ; mm_aot.py:45:48
	v_xor_b32_e32 v24, s19, v3
	v_mad_u64_u32 v[6:7], s[16:17], v14, v26, 0
	v_mad_u64_u32 v[8:9], s[16:17], v24, v26, 0
.Ltmp11:
	.loc	2 43 17                         ; standard.py:43:17 @[ mm_aot.py:10:22 @[ mm_aot.py:49:40 ] ]
	s_add_i32 s16, s10, 31
	.loc	2 43 30 is_stmt 0               ; standard.py:43:30 @[ mm_aot.py:10:22 @[ mm_aot.py:49:40 ] ]
	s_ashr_i32 s17, s16, 31
.Ltmp12:
	.loc	1 46 48 is_stmt 1               ; mm_aot.py:46:48
	v_rcp_iflag_f32_e32 v3, v4
.Ltmp13:
	.loc	2 43 30                         ; standard.py:43:30 @[ mm_aot.py:10:22 @[ mm_aot.py:49:40 ] ]
	s_lshr_b32 s17, s17, 27
	s_add_i32 s16, s16, s17
.Ltmp14:
	.loc	1 45 48                         ; mm_aot.py:45:48
	v_xor_b32_e32 v2, s19, v2
.Ltmp15:
	.loc	1 10 27                         ; mm_aot.py:10:27 @[ mm_aot.py:49:40 ]
	s_andn2_b32 s16, s16, 31
.Ltmp16:
	.loc	1 45 48                         ; mm_aot.py:45:48
	v_subrev_u32_e32 v2, s19, v2
.Ltmp17:
	.loc	1 10 31                         ; mm_aot.py:10:31 @[ mm_aot.py:49:40 ]
	s_sub_i32 s39, s16, 32
.Ltmp18:
	.loc	1 45 48                         ; mm_aot.py:45:48
	v_add_u32_e32 v4, 32, v13
	.loc	1 46 48                         ; mm_aot.py:46:48
	v_mul_f32_e32 v6, 0x4f7ffffe, v3
	.loc	1 57 40                         ; mm_aot.py:57:40
	v_mad_i64_i32 v[2:3], s[16:17], v2, s11, 0
	.loc	1 55 43                         ; mm_aot.py:55:43
	s_cmp_gt_i32 s39, 0
	.loc	1 45 48                         ; mm_aot.py:45:48
	v_xor_b32_e32 v27, s19, v4
	v_add_u32_e32 v4, 40, v13
	.loc	1 55 43                         ; mm_aot.py:55:43
	s_cselect_b64 s[20:21], -1, 0
	s_cmp_lt_i32 s39, 1
	.loc	1 57 66                         ; mm_aot.py:57:66
	v_mad_i64_i32 v[16:17], s[16:17], s12, v56, 0
	v_lshl_add_u64 v[18:19], v[2:3], 2, s[2:3]
	.loc	1 57 20 is_stmt 0               ; mm_aot.py:57:20
	s_cbranch_scc1 .LBB0_2
; %bb.1:
	.loc	1 0 20                          ; mm_aot.py:0:20
	v_lshl_add_u64 v[10:11], v[16:17], 2, v[18:19]
	.loc	1 57 20                         ; mm_aot.py:57:20
	global_load_dword v38, v[10:11], off
	s_branch .LBB0_3
.LBB0_2:
	.loc	1 0 20                          ; mm_aot.py:0:20
	v_mov_b32_e32 v38, 0
.LBB0_3:
	v_xor_b32_e32 v28, s19, v4
	.loc	1 45 48 is_stmt 1               ; mm_aot.py:45:48
	v_mul_lo_u32 v4, v5, s13
	v_sub_u32_e32 v4, v15, v4
	v_subrev_u32_e32 v5, s13, v4
	v_cmp_le_u32_e32 vcc, s13, v4
	v_cvt_u32_f32_e32 v29, v6
	.loc	1 0 0 is_stmt 0                 ; mm_aot.py:0
	v_mad_u64_u32 v[10:11], s[16:17], v27, v26, 0
	.loc	1 45 48                         ; mm_aot.py:45:48
	v_cndmask_b32_e32 v4, v4, v5, vcc
	v_subrev_u32_e32 v5, s13, v4
	v_cmp_le_u32_e32 vcc, s13, v4
	.loc	1 57 20 is_stmt 1               ; mm_aot.py:57:20
	v_cndmask_b32_e64 v8, 0, 1, s[20:21]
	s_lshl_b32 s38, s25, 6
	.loc	1 45 48                         ; mm_aot.py:45:48
	v_cndmask_b32_e32 v4, v4, v5, vcc
	v_xor_b32_e32 v4, s19, v4
	v_subrev_u32_e32 v4, s19, v4
	.loc	1 57 40                         ; mm_aot.py:57:40
	v_mad_i64_i32 v[4:5], s[16:17], v4, s11, 0
	s_sub_i32 s26, 0, s24
	.loc	1 0 0 is_stmt 0                 ; mm_aot.py:0
	v_add_u32_e32 v6, 48, v13
	.loc	1 57 20                         ; mm_aot.py:57:20
	v_cmp_ne_u32_e64 s[16:17], 1, v8
	s_andn2_b64 vcc, exec, s[20:21]
	.loc	1 57 25                         ; mm_aot.py:57:25
	v_lshl_add_u64 v[20:21], v[4:5], 2, s[2:3]
	.loc	1 57 20                         ; mm_aot.py:57:20
	s_cbranch_vccnz .LBB0_5
; %bb.4:
	.loc	1 57 25                         ; mm_aot.py:57:25
	v_lshl_add_u64 v[22:23], v[16:17], 2, v[20:21]
	.loc	1 57 20                         ; mm_aot.py:57:20
	global_load_dword v39, v[22:23], off
	s_branch .LBB0_6
.LBB0_5:
	.loc	1 0 20                          ; mm_aot.py:0:20
	v_mov_b32_e32 v39, 0
.LBB0_6:
	v_xor_b32_e32 v30, s19, v6
	.loc	1 45 48 is_stmt 1               ; mm_aot.py:45:48
	v_mul_lo_u32 v6, v7, s13
	v_sub_u32_e32 v6, v14, v6
	v_subrev_u32_e32 v7, s13, v6
	v_cmp_le_u32_e32 vcc, s13, v6
	.loc	1 0 0 is_stmt 0                 ; mm_aot.py:0
	v_mul_lo_u32 v15, s26, v29
	v_or_b32_e32 v8, s38, v12
	.loc	1 45 48                         ; mm_aot.py:45:48
	v_cndmask_b32_e32 v6, v6, v7, vcc
	v_subrev_u32_e32 v7, s13, v6
	v_cmp_le_u32_e32 vcc, s13, v6
	.loc	1 0 0                           ; mm_aot.py:0
	s_bfe_i32 s20, s25, 0x10019
	v_add_u32_e32 v10, 56, v13
	.loc	1 45 48                         ; mm_aot.py:45:48
	v_cndmask_b32_e32 v6, v6, v7, vcc
	v_xor_b32_e32 v6, s19, v6
	v_subrev_u32_e32 v6, s19, v6
	.loc	1 57 40 is_stmt 1               ; mm_aot.py:57:40
	v_mad_i64_i32 v[6:7], s[26:27], v6, s11, 0
	.loc	1 0 0 is_stmt 0                 ; mm_aot.py:0
	v_mad_u64_u32 v[12:13], s[26:27], v28, v26, 0
	.loc	1 57 20                         ; mm_aot.py:57:20
	s_and_b64 vcc, exec, s[16:17]
	.loc	1 57 25                         ; mm_aot.py:57:25
	v_lshl_add_u64 v[22:23], v[6:7], 2, s[2:3]
	.loc	1 57 20                         ; mm_aot.py:57:20
	s_cbranch_vccnz .LBB0_8
; %bb.7:
	.loc	1 57 25                         ; mm_aot.py:57:25
	v_lshl_add_u64 v[32:33], v[16:17], 2, v[22:23]
	.loc	1 57 20                         ; mm_aot.py:57:20
	global_load_dword v40, v[32:33], off
	s_branch .LBB0_9
.LBB0_8:
	.loc	1 0 20                          ; mm_aot.py:0:20
	v_mov_b32_e32 v40, 0
.LBB0_9:
	v_add_u32_e32 v12, s20, v8
	.loc	1 45 48 is_stmt 1               ; mm_aot.py:45:48
	v_mul_lo_u32 v8, v9, s13
	v_sub_u32_e32 v8, v24, v8
	v_subrev_u32_e32 v9, s13, v8
	v_cmp_le_u32_e32 vcc, s13, v8
	.loc	1 0 0 is_stmt 0                 ; mm_aot.py:0
	v_mul_hi_u32 v31, v29, v15
	v_xor_b32_e32 v36, s19, v10
	.loc	1 45 48                         ; mm_aot.py:45:48
	v_cndmask_b32_e32 v8, v8, v9, vcc
	v_subrev_u32_e32 v9, s13, v8
	v_cmp_le_u32_e32 vcc, s13, v8
	.loc	1 0 0                           ; mm_aot.py:0
	v_mad_u64_u32 v[14:15], s[26:27], v30, v26, 0
	.loc	1 45 48                         ; mm_aot.py:45:48
	s_nop 0
	v_cndmask_b32_e32 v8, v8, v9, vcc
	v_xor_b32_e32 v8, s19, v8
	v_subrev_u32_e32 v8, s19, v8
	.loc	1 57 40 is_stmt 1               ; mm_aot.py:57:40
	v_mad_i64_i32 v[8:9], s[26:27], v8, s11, 0
	.loc	1 57 20 is_stmt 0               ; mm_aot.py:57:20
	s_and_b64 vcc, exec, s[16:17]
	.loc	1 57 25                         ; mm_aot.py:57:25
	v_lshl_add_u64 v[24:25], v[8:9], 2, s[2:3]
	.loc	1 57 20                         ; mm_aot.py:57:20
	s_cbranch_vccnz .LBB0_11
; %bb.10:
	.loc	1 57 25                         ; mm_aot.py:57:25
	v_lshl_add_u64 v[32:33], v[16:17], 2, v[24:25]
	.loc	1 57 20                         ; mm_aot.py:57:20
	global_load_dword v41, v[32:33], off
	s_branch .LBB0_12
.LBB0_11:
	.loc	1 0 20                          ; mm_aot.py:0:20
	v_mov_b32_e32 v41, 0
.LBB0_12:
	.loc	1 45 48 is_stmt 1               ; mm_aot.py:45:48
	v_mul_lo_u32 v10, v11, s13
	v_sub_u32_e32 v10, v27, v10
	v_subrev_u32_e32 v11, s13, v10
	v_cmp_le_u32_e32 vcc, s13, v10
	.loc	1 0 0 is_stmt 0                 ; mm_aot.py:0
	v_xor_b32_e32 v45, s20, v12
	v_add_u32_e32 v12, v29, v31
	.loc	1 45 48                         ; mm_aot.py:45:48
	v_cndmask_b32_e32 v10, v10, v11, vcc
	v_subrev_u32_e32 v11, s13, v10
	v_cmp_le_u32_e32 vcc, s13, v10
	.loc	1 0 0                           ; mm_aot.py:0
	v_mad_u64_u32 v[32:33], s[26:27], v36, v26, 0
	.loc	1 45 48                         ; mm_aot.py:45:48
	s_nop 0
	v_cndmask_b32_e32 v10, v10, v11, vcc
	v_xor_b32_e32 v10, s19, v10
	v_subrev_u32_e32 v10, s19, v10
	.loc	1 57 40 is_stmt 1               ; mm_aot.py:57:40
	v_mad_i64_i32 v[10:11], s[26:27], v10, s11, 0
	.loc	1 57 20 is_stmt 0               ; mm_aot.py:57:20
	s_and_b64 vcc, exec, s[16:17]
	.loc	1 57 25                         ; mm_aot.py:57:25
	v_lshl_add_u64 v[26:27], v[10:11], 2, s[2:3]
	.loc	1 57 20                         ; mm_aot.py:57:20
	s_cbranch_vccnz .LBB0_14
; %bb.13:
	.loc	1 57 25                         ; mm_aot.py:57:25
	v_lshl_add_u64 v[34:35], v[16:17], 2, v[26:27]
	.loc	1 57 20                         ; mm_aot.py:57:20
	global_load_dword v42, v[34:35], off
	s_branch .LBB0_15
.LBB0_14:
	.loc	1 0 20                          ; mm_aot.py:0:20
	v_mov_b32_e32 v42, 0
.LBB0_15:
	v_mad_u64_u32 v[34:35], s[26:27], v45, v12, 0
	.loc	1 45 48 is_stmt 1               ; mm_aot.py:45:48
	v_mul_lo_u32 v12, v13, s13
	v_sub_u32_e32 v12, v28, v12
	v_subrev_u32_e32 v13, s13, v12
	v_cmp_le_u32_e32 vcc, s13, v12
	s_nop 1
	v_cndmask_b32_e32 v12, v12, v13, vcc
	v_subrev_u32_e32 v13, s13, v12
	v_cmp_le_u32_e32 vcc, s13, v12
	s_nop 1
	v_cndmask_b32_e32 v12, v12, v13, vcc
	v_xor_b32_e32 v12, s19, v12
	v_subrev_u32_e32 v12, s19, v12
	.loc	1 57 40                         ; mm_aot.py:57:40
	v_mad_i64_i32 v[12:13], s[26:27], v12, s11, 0
	.loc	1 57 20 is_stmt 0               ; mm_aot.py:57:20
	s_and_b64 vcc, exec, s[16:17]
	.loc	1 57 25                         ; mm_aot.py:57:25
	v_lshl_add_u64 v[28:29], v[12:13], 2, s[2:3]
	.loc	1 57 20                         ; mm_aot.py:57:20
	s_cbranch_vccnz .LBB0_17
; %bb.16:
	.loc	1 57 25                         ; mm_aot.py:57:25
	v_lshl_add_u64 v[46:47], v[16:17], 2, v[28:29]
	.loc	1 57 20                         ; mm_aot.py:57:20
	global_load_dword v34, v[46:47], off
	s_branch .LBB0_18
.LBB0_17:
	.loc	1 0 20                          ; mm_aot.py:0:20
	v_mov_b32_e32 v34, 0
.LBB0_18:
	.loc	1 45 48 is_stmt 1               ; mm_aot.py:45:48
	v_mul_lo_u32 v14, v15, s13
	v_sub_u32_e32 v14, v30, v14
	v_subrev_u32_e32 v15, s13, v14
	v_cmp_le_u32_e32 vcc, s13, v14
	s_nop 1
	v_cndmask_b32_e32 v14, v14, v15, vcc
	v_subrev_u32_e32 v15, s13, v14
	v_cmp_le_u32_e32 vcc, s13, v14
	s_nop 1
	v_cndmask_b32_e32 v14, v14, v15, vcc
	v_xor_b32_e32 v14, s19, v14
	v_subrev_u32_e32 v14, s19, v14
	.loc	1 57 40                         ; mm_aot.py:57:40
	v_mad_i64_i32 v[14:15], s[26:27], v14, s11, 0
	.loc	1 57 20 is_stmt 0               ; mm_aot.py:57:20
	s_and_b64 vcc, exec, s[16:17]
	.loc	1 57 25                         ; mm_aot.py:57:25
	v_lshl_add_u64 v[30:31], v[14:15], 2, s[2:3]
	.loc	1 57 20                         ; mm_aot.py:57:20
	s_cbranch_vccnz .LBB0_20
; %bb.19:
	.loc	1 57 25                         ; mm_aot.py:57:25
	v_lshl_add_u64 v[46:47], v[16:17], 2, v[30:31]
	.loc	1 57 20                         ; mm_aot.py:57:20
	global_load_dword v43, v[46:47], off
	s_branch .LBB0_21
.LBB0_20:
	.loc	1 0 20                          ; mm_aot.py:0:20
	v_mov_b32_e32 v43, 0
.LBB0_21:
	;; [unrolled: 31-line block ×3, first 2 shown]
	.loc	1 46 48 is_stmt 1               ; mm_aot.py:46:48
	v_mul_lo_u32 v16, v35, s24
	v_sub_u32_e32 v16, v45, v16
	v_subrev_u32_e32 v17, s24, v16
	v_cmp_le_u32_e32 vcc, s24, v16
	.loc	1 56 37                         ; mm_aot.py:56:37
	s_lshr_b32 s40, s23, 6
	.loc	1 58 39                         ; mm_aot.py:58:39
	s_ashr_i32 s19, s18, 31
	.loc	1 46 48                         ; mm_aot.py:46:48
	v_cndmask_b32_e32 v16, v16, v17, vcc
	v_subrev_u32_e32 v17, s24, v16
	v_cmp_le_u32_e32 vcc, s24, v16
	s_nop 1
	v_cndmask_b32_e32 v16, v16, v17, vcc
	v_xor_b32_e32 v16, s20, v16
	v_subrev_u32_e32 v16, s20, v16
	.loc	1 58 20                         ; mm_aot.py:58:20
	s_and_b64 vcc, exec, s[16:17]
	.loc	1 58 66 is_stmt 0               ; mm_aot.py:58:66
	v_mad_i64_i32 v[16:17], s[20:21], v16, s14, 0
	.loc	1 58 20                         ; mm_aot.py:58:20
	s_cbranch_vccnz .LBB0_33
; %bb.25:
	.loc	1 58 39                         ; mm_aot.py:58:39
	s_mul_hi_i32 s21, s40, s18
	s_mul_i32 s20, s40, s18
	.loc	1 58 25                         ; mm_aot.py:58:25
	s_lshl_b64 s[20:21], s[20:21], 2
	s_add_u32 s20, s4, s20
	s_addc_u32 s21, s5, s21
	v_lshl_add_u64 v[46:47], v[16:17], 2, s[20:21]
	.loc	1 58 20                         ; mm_aot.py:58:20
	global_load_dword v35, v[46:47], off
	s_and_b64 vcc, exec, s[16:17]
	.loc	1 56 37 is_stmt 1               ; mm_aot.py:56:37
	s_or_b32 s41, s40, 4
	.loc	1 58 20                         ; mm_aot.py:58:20
	s_cbranch_vccnz .LBB0_34
.LBB0_26:
	.loc	1 58 39 is_stmt 0               ; mm_aot.py:58:39
	s_mul_hi_i32 s21, s41, s18
	s_mul_i32 s20, s41, s18
	.loc	1 58 25                         ; mm_aot.py:58:25
	s_lshl_b64 s[20:21], s[20:21], 2
	s_add_u32 s20, s4, s20
	s_addc_u32 s21, s5, s21
	v_lshl_add_u64 v[46:47], v[16:17], 2, s[20:21]
	.loc	1 58 20                         ; mm_aot.py:58:20
	global_load_dword v45, v[46:47], off
	s_and_b64 vcc, exec, s[16:17]
	.loc	1 56 37 is_stmt 1               ; mm_aot.py:56:37
	s_or_b32 s42, s40, 8
	.loc	1 58 20                         ; mm_aot.py:58:20
	s_cbranch_vccnz .LBB0_35
.LBB0_27:
	.loc	1 58 39 is_stmt 0               ; mm_aot.py:58:39
	s_mul_hi_i32 s21, s42, s18
	s_mul_i32 s20, s42, s18
	.loc	1 58 25                         ; mm_aot.py:58:25
	s_lshl_b64 s[20:21], s[20:21], 2
	s_add_u32 s20, s4, s20
	s_addc_u32 s21, s5, s21
	v_lshl_add_u64 v[46:47], v[16:17], 2, s[20:21]
	.loc	1 58 20                         ; mm_aot.py:58:20
	global_load_dword v46, v[46:47], off
	s_and_b64 vcc, exec, s[16:17]
	.loc	1 56 37 is_stmt 1               ; mm_aot.py:56:37
	s_or_b32 s43, s40, 12
	.loc	1 58 20                         ; mm_aot.py:58:20
	s_cbranch_vccnz .LBB0_36
.LBB0_28:
	.loc	1 58 39 is_stmt 0               ; mm_aot.py:58:39
	s_mul_hi_i32 s21, s43, s18
	s_mul_i32 s20, s43, s18
	.loc	1 58 25                         ; mm_aot.py:58:25
	s_lshl_b64 s[20:21], s[20:21], 2
	s_add_u32 s20, s4, s20
	s_addc_u32 s21, s5, s21
	v_lshl_add_u64 v[48:49], v[16:17], 2, s[20:21]
	.loc	1 58 20                         ; mm_aot.py:58:20
	global_load_dword v47, v[48:49], off
	s_and_b64 vcc, exec, s[16:17]
	.loc	1 56 37 is_stmt 1               ; mm_aot.py:56:37
	s_or_b32 s44, s40, 16
	.loc	1 58 20                         ; mm_aot.py:58:20
	s_cbranch_vccnz .LBB0_37
.LBB0_29:
	.loc	1 58 39 is_stmt 0               ; mm_aot.py:58:39
	s_mul_hi_i32 s21, s44, s18
	s_mul_i32 s20, s44, s18
	.loc	1 58 25                         ; mm_aot.py:58:25
	s_lshl_b64 s[20:21], s[20:21], 2
	s_add_u32 s20, s4, s20
	s_addc_u32 s21, s5, s21
	v_lshl_add_u64 v[48:49], v[16:17], 2, s[20:21]
	.loc	1 58 20                         ; mm_aot.py:58:20
	global_load_dword v48, v[48:49], off
	s_and_b64 vcc, exec, s[16:17]
	.loc	1 56 37 is_stmt 1               ; mm_aot.py:56:37
	s_or_b32 s45, s40, 20
	.loc	1 58 20                         ; mm_aot.py:58:20
	s_cbranch_vccnz .LBB0_38
.LBB0_30:
	.loc	1 58 39 is_stmt 0               ; mm_aot.py:58:39
	s_mul_hi_i32 s21, s45, s18
	s_mul_i32 s20, s45, s18
	.loc	1 58 25                         ; mm_aot.py:58:25
	s_lshl_b64 s[20:21], s[20:21], 2
	s_add_u32 s20, s4, s20
	s_addc_u32 s21, s5, s21
	v_lshl_add_u64 v[50:51], v[16:17], 2, s[20:21]
	.loc	1 58 20                         ; mm_aot.py:58:20
	global_load_dword v49, v[50:51], off
	s_and_b64 vcc, exec, s[16:17]
	.loc	1 56 37 is_stmt 1               ; mm_aot.py:56:37
	s_or_b32 s46, s40, 24
	.loc	1 58 20                         ; mm_aot.py:58:20
	s_cbranch_vccnz .LBB0_39
.LBB0_31:
	.loc	1 58 39 is_stmt 0               ; mm_aot.py:58:39
	s_mul_hi_i32 s21, s46, s18
	s_mul_i32 s20, s46, s18
	.loc	1 58 25                         ; mm_aot.py:58:25
	s_lshl_b64 s[20:21], s[20:21], 2
	s_add_u32 s20, s4, s20
	s_addc_u32 s21, s5, s21
	v_lshl_add_u64 v[50:51], v[16:17], 2, s[20:21]
	.loc	1 58 20                         ; mm_aot.py:58:20
	global_load_dword v50, v[50:51], off
	s_ashr_i32 s13, s12, 31
	s_and_b64 vcc, exec, s[16:17]
	.loc	1 56 37 is_stmt 1               ; mm_aot.py:56:37
	s_or_b32 s47, s40, 28
	.loc	1 58 20                         ; mm_aot.py:58:20
	s_cbranch_vccnz .LBB0_40
.LBB0_32:
	.loc	1 58 39 is_stmt 0               ; mm_aot.py:58:39
	s_mul_hi_i32 s17, s47, s18
	s_mul_i32 s16, s47, s18
	.loc	1 58 25                         ; mm_aot.py:58:25
	s_lshl_b64 s[16:17], s[16:17], 2
	s_add_u32 s16, s4, s16
	s_addc_u32 s17, s5, s17
	v_lshl_add_u64 v[52:53], v[16:17], 2, s[16:17]
	.loc	1 58 20                         ; mm_aot.py:58:20
	global_load_dword v51, v[52:53], off
	s_branch .LBB0_41
.LBB0_33:
	.loc	1 0 20                          ; mm_aot.py:0:20
	v_mov_b32_e32 v35, 0
	.loc	1 58 20                         ; mm_aot.py:58:20
	s_and_b64 vcc, exec, s[16:17]
	.loc	1 56 37 is_stmt 1               ; mm_aot.py:56:37
	s_or_b32 s41, s40, 4
	.loc	1 58 20                         ; mm_aot.py:58:20
	s_cbranch_vccz .LBB0_26
.LBB0_34:
	.loc	1 0 20 is_stmt 0                ; mm_aot.py:0:20
	v_mov_b32_e32 v45, 0
	.loc	1 58 20                         ; mm_aot.py:58:20
	s_and_b64 vcc, exec, s[16:17]
	.loc	1 56 37 is_stmt 1               ; mm_aot.py:56:37
	s_or_b32 s42, s40, 8
	.loc	1 58 20                         ; mm_aot.py:58:20
	s_cbranch_vccz .LBB0_27
.LBB0_35:
	.loc	1 0 20 is_stmt 0                ; mm_aot.py:0:20
	v_mov_b32_e32 v46, 0
	.loc	1 58 20                         ; mm_aot.py:58:20
	s_and_b64 vcc, exec, s[16:17]
	.loc	1 56 37 is_stmt 1               ; mm_aot.py:56:37
	s_or_b32 s43, s40, 12
	.loc	1 58 20                         ; mm_aot.py:58:20
	s_cbranch_vccz .LBB0_28
.LBB0_36:
	.loc	1 0 20 is_stmt 0                ; mm_aot.py:0:20
	v_mov_b32_e32 v47, 0
	.loc	1 58 20                         ; mm_aot.py:58:20
	s_and_b64 vcc, exec, s[16:17]
	.loc	1 56 37 is_stmt 1               ; mm_aot.py:56:37
	s_or_b32 s44, s40, 16
	.loc	1 58 20                         ; mm_aot.py:58:20
	s_cbranch_vccz .LBB0_29
.LBB0_37:
	.loc	1 0 20 is_stmt 0                ; mm_aot.py:0:20
	v_mov_b32_e32 v48, 0
	.loc	1 58 20                         ; mm_aot.py:58:20
	s_and_b64 vcc, exec, s[16:17]
	.loc	1 56 37 is_stmt 1               ; mm_aot.py:56:37
	s_or_b32 s45, s40, 20
	.loc	1 58 20                         ; mm_aot.py:58:20
	s_cbranch_vccz .LBB0_30
.LBB0_38:
	.loc	1 0 20 is_stmt 0                ; mm_aot.py:0:20
	v_mov_b32_e32 v49, 0
	.loc	1 58 20                         ; mm_aot.py:58:20
	s_and_b64 vcc, exec, s[16:17]
	.loc	1 56 37 is_stmt 1               ; mm_aot.py:56:37
	s_or_b32 s46, s40, 24
	.loc	1 58 20                         ; mm_aot.py:58:20
	s_cbranch_vccz .LBB0_31
.LBB0_39:
	.loc	1 0 20 is_stmt 0                ; mm_aot.py:0:20
	v_mov_b32_e32 v50, 0
	s_ashr_i32 s13, s12, 31
	.loc	1 58 20                         ; mm_aot.py:58:20
	s_and_b64 vcc, exec, s[16:17]
	.loc	1 56 37 is_stmt 1               ; mm_aot.py:56:37
	s_or_b32 s47, s40, 28
	.loc	1 58 20                         ; mm_aot.py:58:20
	s_cbranch_vccz .LBB0_32
.LBB0_40:
	.loc	1 0 20 is_stmt 0                ; mm_aot.py:0:20
	v_mov_b32_e32 v51, 0
.LBB0_41:
	.loc	1 57 20 is_stmt 1               ; mm_aot.py:57:20
	v_lshlrev_b32_e32 v1, 2, v1
	s_lshr_b32 s16, s23, 4
	v_xor_b32_e32 v53, s16, v1
	v_add_u32_e32 v59, 0, v53
	s_waitcnt vmcnt(0)
	ds_write2st64_b32 v59, v38, v40 offset1:8
	ds_write2st64_b32 v59, v42, v43 offset0:16 offset1:24
	v_xor_b32_e32 v38, 16, v53
	.loc	1 43 40                         ; mm_aot.py:43:40
	s_and_b32 s11, s22, 0x80
	v_and_b32_e32 v52, 32, v0
	s_and_b32 s14, s22, 64
	.loc	1 57 20                         ; mm_aot.py:57:20
	v_add_u32_e32 v60, 0, v38
	.loc	1 58 20                         ; mm_aot.py:58:20
	v_add_u32_e32 v58, 0, v1
	.loc	1 55 43                         ; mm_aot.py:55:43
	s_sub_i32 s48, s39, 32
	.loc	1 43 40                         ; mm_aot.py:43:40
	v_lshrrev_b32_e32 v57, 3, v52
	.loc	1 57 20                         ; mm_aot.py:57:20
	ds_write2st64_b32 v60, v39, v41 offset0:4 offset1:12
	ds_write2st64_b32 v60, v34, v44 offset0:20 offset1:28
	.loc	1 58 20                         ; mm_aot.py:58:20
	ds_write2st64_b32 v58, v35, v45 offset0:32 offset1:36
	ds_write2st64_b32 v58, v46, v47 offset0:40 offset1:44
	;; [unrolled: 1-line block ×4, first 2 shown]
	.loc	1 55 43                         ; mm_aot.py:55:43
	s_cmp_gt_i32 s48, 0
	v_lshlrev_b32_e32 v1, 7, v56
	v_lshlrev_b32_e32 v35, 1, v0
	;; [unrolled: 1-line block ×4, first 2 shown]
	s_cbranch_scc1 .LBB0_44
; %bb.42:                               ; %.._crit_edge_crit_edge
	.loc	1 57 20                         ; mm_aot.py:57:20
	v_lshl_or_b32 v34, s11, 5, v1
	v_bitop3_b32 v38, v35, v57, 28 bitop3:0x6c
	.loc	1 58 20                         ; mm_aot.py:58:20
	s_lshl_b32 s20, s14, 1
	.loc	1 57 20                         ; mm_aot.py:57:20
	v_or_b32_e32 v63, v34, v38
	v_bitop3_b32 v64, v34, 8, v38 bitop3:0x36
	v_bitop3_b32 v65, v34, 16, v38 bitop3:0x36
	v_bitop3_b32 v66, v34, 24, v38 bitop3:0x36
	v_mov_b32_e32 v34, s20
	s_cbranch_execz .LBB0_45
; %bb.43:
	.loc	1 0 20 is_stmt 0                ; mm_aot.py:0:20
	v_mov_b32_e32 v15, 0
	v_mov_b32_e32 v14, v15
	;; [unrolled: 1-line block ×16, first 2 shown]
	s_branch .LBB0_48
.LBB0_44:
                                        ; implicit-def: $vgpr63
                                        ; implicit-def: $vgpr64
                                        ; implicit-def: $vgpr65
                                        ; implicit-def: $vgpr66
                                        ; implicit-def: $vgpr34
.LBB0_45:                               ; %.lr.ph
	s_lshl_b32 s49, s14, 1
	s_add_i32 s16, s49, 0
	.loc	1 55 43 is_stmt 1               ; mm_aot.py:55:43
	s_bfe_u32 s36, s22, 0x20006
	v_add_u32_e32 v54, s16, v62
	s_or_b32 s16, s36, 60
	s_mul_hi_i32 s17, s16, s18
	s_mul_i32 s16, s16, s18
	s_lshl_b64 s[16:17], s[16:17], 2
	s_add_u32 s16, s4, s16
	s_addc_u32 s17, s5, s17
	s_lshl_b64 s[20:21], s[18:19], 7
	s_or_b32 s19, s36, 56
	s_mul_hi_i32 s23, s19, s18
	s_mul_i32 s22, s19, s18
	s_lshl_b64 s[22:23], s[22:23], 2
	s_add_u32 s22, s4, s22
	s_addc_u32 s23, s5, s23
	s_or_b32 s19, s36, 52
	s_mul_hi_i32 s25, s19, s18
	s_mul_i32 s24, s19, s18
	s_lshl_b64 s[24:25], s[24:25], 2
	s_add_u32 s24, s4, s24
	s_addc_u32 s25, s5, s25
	;; [unrolled: 6-line block ×6, first 2 shown]
	s_or_b32 s19, s36, 32
	v_lshl_or_b32 v1, s11, 5, v1
	v_bitop3_b32 v34, v35, v57, 28 bitop3:0x6c
	s_mul_hi_i32 s37, s19, s18
	s_mul_i32 s36, s19, s18
	v_and_or_b32 v0, v0, 31, 32
	v_or_b32_e32 v63, v1, v34
	v_bitop3_b32 v64, v1, 8, v34 bitop3:0x36
	v_bitop3_b32 v65, v1, 16, v34 bitop3:0x36
	;; [unrolled: 1-line block ×3, first 2 shown]
	s_lshl_b64 s[36:37], s[36:37], 2
	v_mad_i64_i32 v[0:1], s[52:53], v0, s12, 0
	s_add_u32 s36, s4, s36
	v_lshl_add_u64 v[38:39], v[0:1], 2, s[2:3]
	v_mov_b32_e32 v0, 0
	s_mov_b32 s50, 0
	v_lshlrev_b64 v[34:35], 2, v[16:17]
	s_addc_u32 s37, s5, s37
	v_lshlrev_b64 v[36:37], 2, v[36:37]
	s_lshl_b64 s[2:3], s[12:13], 7
	v_lshlrev_b64 v[40:41], 2, v[14:15]
	v_lshlrev_b64 v[42:43], 2, v[12:13]
	;; [unrolled: 1-line block ×7, first 2 shown]
	v_add_u32_e32 v67, 0, v63
	v_add_u32_e32 v68, 0, v64
	;; [unrolled: 1-line block ×5, first 2 shown]
	v_mov_b32_e32 v1, v0
	v_mov_b32_e32 v2, v0
	;; [unrolled: 1-line block ×15, first 2 shown]
.LBB0_46:                               ; =>This Inner Loop Header: Depth=1
	.loc	1 57 25                         ; mm_aot.py:57:25
	v_lshl_add_u64 v[54:55], v[38:39], 0, v[52:53]
	v_lshl_add_u64 v[72:73], v[38:39], 0, v[50:51]
	;; [unrolled: 1-line block ×7, first 2 shown]
	.loc	1 57 20 is_stmt 0               ; mm_aot.py:57:20
	v_lshl_add_u64 v[84:85], v[38:39], 0, v[36:37]
	global_load_dword v88, v[54:55], off
	global_load_dword v89, v[74:75], off
	;; [unrolled: 1-line block ×8, first 2 shown]
	s_waitcnt lgkmcnt(0)
	s_barrier
	.loc	1 58 20 is_stmt 1               ; mm_aot.py:58:20
	ds_read2st64_b32 v[54:55], v71 offset0:32 offset1:34
	.loc	1 57 20                         ; mm_aot.py:57:20
	ds_read2_b32 v[72:73], v67 offset1:8
	.loc	1 65 29                         ; mm_aot.py:65:29
	s_waitcnt lgkmcnt(0)
	v_mfma_f32_32x32x2_f32 v[0:15], v54, v72, v[0:15]
	.loc	1 57 20                         ; mm_aot.py:57:20
	ds_read2_b32 v[74:75], v68 offset1:8
	.loc	1 58 20                         ; mm_aot.py:58:20
	ds_read2st64_b32 v[76:77], v71 offset0:36 offset1:38
	.loc	1 57 20                         ; mm_aot.py:57:20
	ds_read2_b32 v[78:79], v69 offset1:8
	ds_read2_b32 v[80:81], v70 offset1:8
	.loc	1 58 20                         ; mm_aot.py:58:20
	ds_read2st64_b32 v[82:83], v71 offset0:40 offset1:42
	ds_read2st64_b32 v[84:85], v71 offset0:44 offset1:46
	;; [unrolled: 1-line block ×3, first 2 shown]
	.loc	1 55 43                         ; mm_aot.py:55:43
	s_add_i32 s50, s50, 32
	v_lshl_add_u64 v[38:39], v[38:39], 0, s[2:3]
	.loc	1 65 29                         ; mm_aot.py:65:29
	s_waitcnt lgkmcnt(6)
	v_mfma_f32_32x32x2_f32 v[0:15], v55, v74, v[0:15]
	.loc	1 57 20                         ; mm_aot.py:57:20
	ds_read2_b32 v[54:55], v70 offset0:16 offset1:24
	.loc	1 65 29                         ; mm_aot.py:65:29
	s_waitcnt lgkmcnt(5)
	v_mfma_f32_32x32x2_f32 v[0:15], v76, v78, v[0:15]
	s_waitcnt lgkmcnt(4)
	v_mfma_f32_32x32x2_f32 v[0:15], v77, v80, v[0:15]
	.loc	1 57 20                         ; mm_aot.py:57:20
	ds_read2_b32 v[76:77], v67 offset0:16 offset1:24
	.loc	1 65 29                         ; mm_aot.py:65:29
	s_waitcnt lgkmcnt(4)
	v_mfma_f32_32x32x2_f32 v[0:15], v82, v73, v[0:15]
	.loc	1 57 20                         ; mm_aot.py:57:20
	ds_read2_b32 v[72:73], v68 offset0:16 offset1:24
	.loc	1 65 29                         ; mm_aot.py:65:29
	v_mfma_f32_32x32x2_f32 v[0:15], v83, v75, v[0:15]
	.loc	1 58 20                         ; mm_aot.py:58:20
	ds_read2st64_b32 v[74:75], v71 offset0:52 offset1:54
	.loc	1 57 20                         ; mm_aot.py:57:20
	ds_read2_b32 v[82:83], v69 offset0:16 offset1:24
	.loc	1 65 29                         ; mm_aot.py:65:29
	s_waitcnt lgkmcnt(6)
	v_mfma_f32_32x32x2_f32 v[0:15], v84, v79, v[0:15]
	.loc	1 58 25                         ; mm_aot.py:58:25
	v_lshl_add_u64 v[78:79], s[36:37], 0, v[34:35]
	.loc	1 58 20 is_stmt 0               ; mm_aot.py:58:20
	global_load_dword v84, v[78:79], off
	.loc	1 58 25                         ; mm_aot.py:58:25
	v_lshl_add_u64 v[78:79], s[30:31], 0, v[34:35]
	.loc	1 65 29 is_stmt 1               ; mm_aot.py:65:29
	v_mfma_f32_32x32x2_f32 v[0:15], v85, v81, v[0:15]
	.loc	1 58 25                         ; mm_aot.py:58:25
	v_lshl_add_u64 v[80:81], s[34:35], 0, v[34:35]
	.loc	1 58 20 is_stmt 0               ; mm_aot.py:58:20
	global_load_dword v80, v[80:81], off
	s_nop 0
	global_load_dword v81, v[78:79], off
	.loc	1 58 25                         ; mm_aot.py:58:25
	v_lshl_add_u64 v[78:79], s[28:29], 0, v[34:35]
	.loc	1 58 20                         ; mm_aot.py:58:20
	global_load_dword v85, v[78:79], off
	.loc	1 58 25                         ; mm_aot.py:58:25
	v_lshl_add_u64 v[78:79], s[26:27], 0, v[34:35]
	.loc	1 65 29 is_stmt 1               ; mm_aot.py:65:29
	s_waitcnt lgkmcnt(3)
	v_mfma_f32_32x32x2_f32 v[0:15], v86, v76, v[0:15]
	.loc	1 58 20                         ; mm_aot.py:58:20
	global_load_dword v76, v[78:79], off
	.loc	1 58 25 is_stmt 0               ; mm_aot.py:58:25
	v_lshl_add_u64 v[78:79], s[24:25], 0, v[34:35]
	.loc	1 58 20                         ; mm_aot.py:58:20
	global_load_dword v78, v[78:79], off
	.loc	1 65 29 is_stmt 1               ; mm_aot.py:65:29
	s_waitcnt lgkmcnt(2)
	v_mfma_f32_32x32x2_f32 v[0:15], v87, v72, v[0:15]
	s_waitcnt lgkmcnt(0)
	v_mfma_f32_32x32x2_f32 v[0:15], v74, v82, v[0:15]
	v_mfma_f32_32x32x2_f32 v[0:15], v75, v54, v[0:15]
	.loc	1 58 25                         ; mm_aot.py:58:25
	v_lshl_add_u64 v[74:75], s[22:23], 0, v[34:35]
	.loc	1 58 20 is_stmt 0               ; mm_aot.py:58:20
	global_load_dword v54, v[74:75], off
	v_lshl_add_u64 v[74:75], s[16:17], 0, v[34:35]
	global_load_dword v79, v[74:75], off
	ds_read2st64_b32 v[74:75], v71 offset0:56 offset1:58
	.loc	1 55 43 is_stmt 1               ; mm_aot.py:55:43
	s_add_u32 s16, s16, s20
	s_addc_u32 s17, s17, s21
	s_add_u32 s22, s22, s20
	s_addc_u32 s23, s23, s21
	;; [unrolled: 2-line block ×5, first 2 shown]
	.loc	1 65 29                         ; mm_aot.py:65:29
	s_waitcnt lgkmcnt(0)
	v_mfma_f32_32x32x2_f32 v[0:15], v74, v77, v[0:15]
	.loc	1 55 43                         ; mm_aot.py:55:43
	s_add_u32 s30, s30, s20
	s_addc_u32 s31, s31, s21
	s_add_u32 s34, s34, s20
	s_addc_u32 s35, s35, s21
	s_add_u32 s36, s36, s20
	s_addc_u32 s37, s37, s21
	s_cmp_lt_i32 s50, s48
	.loc	1 65 29                         ; mm_aot.py:65:29
	v_mfma_f32_32x32x2_f32 v[0:15], v75, v73, v[0:15]
	.loc	1 58 20                         ; mm_aot.py:58:20
	ds_read2st64_b32 v[72:73], v71 offset0:60 offset1:62
	.loc	1 57 20                         ; mm_aot.py:57:20
	s_waitcnt lgkmcnt(0)
	s_barrier
	s_waitcnt vmcnt(14)
	ds_write2st64_b32 v59, v88, v89 offset1:8
	s_waitcnt vmcnt(12)
	ds_write2st64_b32 v59, v90, v91 offset0:16 offset1:24
	s_waitcnt vmcnt(8)
	ds_write2st64_b32 v60, v95, v94 offset0:4 offset1:12
	ds_write2st64_b32 v60, v93, v92 offset0:20 offset1:28
	.loc	1 58 20                         ; mm_aot.py:58:20
	s_waitcnt vmcnt(6)
	ds_write2st64_b32 v58, v84, v80 offset0:32 offset1:36
	s_waitcnt vmcnt(4)
	ds_write2st64_b32 v58, v81, v85 offset0:40 offset1:44
	;; [unrolled: 2-line block ×4, first 2 shown]
	.loc	1 65 29                         ; mm_aot.py:65:29
	v_mfma_f32_32x32x2_f32 v[0:15], v72, v83, v[0:15]
	v_mfma_f32_32x32x2_f32 v[0:15], v73, v55, v[0:15]
	.loc	1 55 43                         ; mm_aot.py:55:43
	s_cbranch_scc1 .LBB0_46
; %bb.47:                               ; %Flow
	.loc	1 0 43 is_stmt 0                ; mm_aot.py:0:43
	v_mov_b32_e32 v34, s49
.LBB0_48:                               ; %Flow178
	s_load_dword s2, s[0:1], 0x38
	.loc	1 55 43 is_stmt 1               ; mm_aot.py:55:43
	s_add_i32 s0, s39, 31
	.loc	1 58 20                         ; mm_aot.py:58:20
	v_or3_b32 v34, v34, v62, v61
	.loc	1 55 43                         ; mm_aot.py:55:43
	s_cmp_lt_i32 s0, 32
	v_add_u32_e32 v36, 0, v34
	v_add_u32_e32 v37, 0, v66
	;; [unrolled: 1-line block ×5, first 2 shown]
	.loc	1 57 20                         ; mm_aot.py:57:20
	s_waitcnt lgkmcnt(0)
	s_barrier
	s_cbranch_scc1 .LBB0_50
; %bb.49:
	.loc	1 58 20                         ; mm_aot.py:58:20
	ds_read2st64_b32 v[34:35], v36 offset0:32 offset1:34
	.loc	1 57 20                         ; mm_aot.py:57:20
	ds_read2_b32 v[42:43], v40 offset1:8
	ds_read2_b32 v[44:45], v39 offset1:8
	;; [unrolled: 1-line block ×3, first 2 shown]
	.loc	1 65 29                         ; mm_aot.py:65:29
	s_waitcnt lgkmcnt(2)
	v_mfma_f32_32x32x2_f32 v[0:15], v34, v42, v[0:15]
	s_waitcnt lgkmcnt(1)
	v_mfma_f32_32x32x2_f32 v[0:15], v35, v44, v[0:15]
	.loc	1 58 20                         ; mm_aot.py:58:20
	ds_read2st64_b32 v[34:35], v36 offset0:36 offset1:38
	.loc	1 57 20                         ; mm_aot.py:57:20
	ds_read2_b32 v[46:47], v38 offset1:8
	.loc	1 65 29                         ; mm_aot.py:65:29
	s_waitcnt lgkmcnt(0)
	v_mfma_f32_32x32x2_f32 v[0:15], v34, v46, v[0:15]
	v_mfma_f32_32x32x2_f32 v[0:15], v35, v48, v[0:15]
	.loc	1 58 20                         ; mm_aot.py:58:20
	ds_read2st64_b32 v[34:35], v36 offset0:40 offset1:42
	.loc	1 65 29                         ; mm_aot.py:65:29
	s_waitcnt lgkmcnt(0)
	v_mfma_f32_32x32x2_f32 v[0:15], v34, v43, v[0:15]
	v_mfma_f32_32x32x2_f32 v[0:15], v35, v45, v[0:15]
	.loc	1 58 20                         ; mm_aot.py:58:20
	ds_read2st64_b32 v[34:35], v36 offset0:44 offset1:46
	.loc	1 57 20                         ; mm_aot.py:57:20
	ds_read2_b32 v[44:45], v39 offset0:16 offset1:24
	.loc	1 65 29                         ; mm_aot.py:65:29
	s_waitcnt lgkmcnt(1)
	v_mfma_f32_32x32x2_f32 v[0:15], v34, v47, v[0:15]
	v_mfma_f32_32x32x2_f32 v[0:15], v35, v49, v[0:15]
	.loc	1 58 20                         ; mm_aot.py:58:20
	ds_read2st64_b32 v[34:35], v36 offset0:48 offset1:50
	.loc	1 57 20                         ; mm_aot.py:57:20
	ds_read2_b32 v[42:43], v40 offset0:16 offset1:24
	ds_read2_b32 v[48:49], v37 offset0:16 offset1:24
	.loc	1 65 29                         ; mm_aot.py:65:29
	s_waitcnt lgkmcnt(1)
	v_mfma_f32_32x32x2_f32 v[0:15], v34, v42, v[0:15]
	v_mfma_f32_32x32x2_f32 v[0:15], v35, v44, v[0:15]
	.loc	1 58 20                         ; mm_aot.py:58:20
	ds_read2st64_b32 v[34:35], v36 offset0:52 offset1:54
	.loc	1 57 20                         ; mm_aot.py:57:20
	ds_read2_b32 v[46:47], v38 offset0:16 offset1:24
	.loc	1 65 29                         ; mm_aot.py:65:29
	s_waitcnt lgkmcnt(0)
	v_mfma_f32_32x32x2_f32 v[0:15], v34, v46, v[0:15]
	v_mfma_f32_32x32x2_f32 v[0:15], v35, v48, v[0:15]
	.loc	1 58 20                         ; mm_aot.py:58:20
	ds_read2st64_b32 v[34:35], v36 offset0:56 offset1:58
	.loc	1 65 29                         ; mm_aot.py:65:29
	s_waitcnt lgkmcnt(0)
	v_mfma_f32_32x32x2_f32 v[0:15], v34, v43, v[0:15]
	v_mfma_f32_32x32x2_f32 v[0:15], v35, v45, v[0:15]
	.loc	1 58 20                         ; mm_aot.py:58:20
	ds_read2st64_b32 v[34:35], v36 offset0:60 offset1:62
	.loc	1 65 29                         ; mm_aot.py:65:29
	s_waitcnt lgkmcnt(0)
	v_mfma_f32_32x32x2_f32 v[0:15], v34, v47, v[0:15]
	v_mfma_f32_32x32x2_f32 v[0:15], v35, v49, v[0:15]
.LBB0_50:                               ; %._crit_edge._crit_edge
	.loc	1 68 26                         ; mm_aot.py:68:26
	v_or_b32_e32 v34, s39, v56
	.loc	1 69 18                         ; mm_aot.py:69:18
	v_cmp_gt_i32_e32 vcc, s10, v34
	.loc	1 71 54                         ; mm_aot.py:71:54
	v_mad_i64_i32 v[34:35], s[0:1], v34, s12, 0
	v_mov_b32_e32 v41, 0
	v_mov_b32_e32 v42, 0
	.loc	1 71 8 is_stmt 0                ; mm_aot.py:71:8
	s_and_saveexec_b64 s[0:1], vcc
	s_cbranch_execz .LBB0_52
; %bb.51:
	.loc	1 0 8                           ; mm_aot.py:0:8
	v_lshl_add_u64 v[18:19], v[34:35], 2, v[18:19]
	.loc	1 71 8                          ; mm_aot.py:71:8
	global_load_dword v42, v[18:19], off
.LBB0_52:
	.loc	1 0 8                           ; mm_aot.py:0:8
	s_or_b64 exec, exec, s[0:1]
	.loc	1 71 8                          ; mm_aot.py:71:8
	s_and_saveexec_b64 s[0:1], vcc
	s_cbranch_execz .LBB0_54
; %bb.53:
	.loc	1 71 13                         ; mm_aot.py:71:13
	v_lshl_add_u64 v[18:19], v[34:35], 2, v[20:21]
	.loc	1 71 8                          ; mm_aot.py:71:8
	global_load_dword v41, v[18:19], off
.LBB0_54:
	.loc	1 0 8                           ; mm_aot.py:0:8
	s_or_b64 exec, exec, s[0:1]
	v_mov_b32_e32 v18, 0
	v_mov_b32_e32 v19, 0
	.loc	1 71 8                          ; mm_aot.py:71:8
	s_and_saveexec_b64 s[0:1], vcc
	s_cbranch_execz .LBB0_56
; %bb.55:
	.loc	1 71 13                         ; mm_aot.py:71:13
	v_lshl_add_u64 v[20:21], v[34:35], 2, v[22:23]
	.loc	1 71 8                          ; mm_aot.py:71:8
	global_load_dword v19, v[20:21], off
.LBB0_56:
	.loc	1 0 8                           ; mm_aot.py:0:8
	s_or_b64 exec, exec, s[0:1]
	.loc	1 71 8                          ; mm_aot.py:71:8
	s_and_saveexec_b64 s[0:1], vcc
	s_cbranch_execz .LBB0_58
; %bb.57:
	.loc	1 71 13                         ; mm_aot.py:71:13
	v_lshl_add_u64 v[20:21], v[34:35], 2, v[24:25]
	.loc	1 71 8                          ; mm_aot.py:71:8
	global_load_dword v18, v[20:21], off
.LBB0_58:
	.loc	1 0 8                           ; mm_aot.py:0:8
	s_or_b64 exec, exec, s[0:1]
	v_mov_b32_e32 v20, 0
	v_mov_b32_e32 v21, 0
	.loc	1 71 8                          ; mm_aot.py:71:8
	s_and_saveexec_b64 s[0:1], vcc
	s_cbranch_execz .LBB0_60
; %bb.59:
	.loc	1 71 13                         ; mm_aot.py:71:13
	v_lshl_add_u64 v[22:23], v[34:35], 2, v[26:27]
	.loc	1 71 8                          ; mm_aot.py:71:8
	global_load_dword v21, v[22:23], off
.LBB0_60:
	.loc	1 0 8                           ; mm_aot.py:0:8
	s_or_b64 exec, exec, s[0:1]
	.loc	1 71 8                          ; mm_aot.py:71:8
	s_and_saveexec_b64 s[0:1], vcc
	s_cbranch_execz .LBB0_62
; %bb.61:
	.loc	1 71 13                         ; mm_aot.py:71:13
	v_lshl_add_u64 v[22:23], v[34:35], 2, v[28:29]
	.loc	1 71 8                          ; mm_aot.py:71:8
	global_load_dword v20, v[22:23], off
.LBB0_62:
	.loc	1 0 8                           ; mm_aot.py:0:8
	s_or_b64 exec, exec, s[0:1]
	v_mov_b32_e32 v22, 0
	v_mov_b32_e32 v23, 0
	.loc	1 71 8                          ; mm_aot.py:71:8
	s_and_saveexec_b64 s[0:1], vcc
	s_cbranch_execnz .LBB0_73
; %bb.63:
	.loc	1 0 8                           ; mm_aot.py:0:8
	s_or_b64 exec, exec, s[0:1]
	.loc	1 71 8                          ; mm_aot.py:71:8
	s_and_saveexec_b64 s[0:1], vcc
	s_cbranch_execnz .LBB0_74
.LBB0_64:
	.loc	1 0 8                           ; mm_aot.py:0:8
	s_or_b64 exec, exec, s[0:1]
	.loc	1 68 26 is_stmt 1               ; mm_aot.py:68:26
	s_or_b32 s0, s40, s39
	.loc	1 69 18                         ; mm_aot.py:69:18
	s_cmp_ge_i32 s0, s10
	s_cbranch_scc1 .LBB0_75
.LBB0_65:
	.loc	1 76 27                         ; mm_aot.py:76:27
	s_mul_hi_i32 s1, s0, s18
	s_mul_i32 s0, s0, s18
	.loc	1 76 13 is_stmt 0               ; mm_aot.py:76:13
	s_lshl_b64 s[0:1], s[0:1], 2
	s_add_u32 s0, s4, s0
	s_addc_u32 s1, s5, s1
	v_lshl_add_u64 v[24:25], v[16:17], 2, s[0:1]
	.loc	1 76 8                          ; mm_aot.py:76:8
	global_load_dword v24, v[24:25], off
	.loc	1 68 26 is_stmt 1               ; mm_aot.py:68:26
	s_or_b32 s0, s41, s39
	.loc	1 69 18                         ; mm_aot.py:69:18
	s_cmp_ge_i32 s0, s10
	.loc	1 76 8                          ; mm_aot.py:76:8
	s_cbranch_scc0 .LBB0_76
.LBB0_66:
	.loc	1 0 8 is_stmt 0                 ; mm_aot.py:0:8
	v_mov_b32_e32 v25, 0
	.loc	1 68 26 is_stmt 1               ; mm_aot.py:68:26
	s_or_b32 s0, s42, s39
	.loc	1 69 18                         ; mm_aot.py:69:18
	s_cmp_ge_i32 s0, s10
	.loc	1 76 8                          ; mm_aot.py:76:8
	s_cbranch_scc0 .LBB0_77
.LBB0_67:
	.loc	1 0 8 is_stmt 0                 ; mm_aot.py:0:8
	v_mov_b32_e32 v26, 0
	.loc	1 68 26 is_stmt 1               ; mm_aot.py:68:26
	s_or_b32 s0, s43, s39
	.loc	1 69 18                         ; mm_aot.py:69:18
	s_cmp_ge_i32 s0, s10
	.loc	1 76 8                          ; mm_aot.py:76:8
	s_cbranch_scc0 .LBB0_78
.LBB0_68:
	.loc	1 0 8 is_stmt 0                 ; mm_aot.py:0:8
	v_mov_b32_e32 v27, 0
	.loc	1 68 26 is_stmt 1               ; mm_aot.py:68:26
	s_or_b32 s0, s44, s39
	.loc	1 69 18                         ; mm_aot.py:69:18
	s_cmp_ge_i32 s0, s10
	.loc	1 76 8                          ; mm_aot.py:76:8
	s_cbranch_scc0 .LBB0_79
.LBB0_69:
	.loc	1 0 8 is_stmt 0                 ; mm_aot.py:0:8
	v_mov_b32_e32 v28, 0
	.loc	1 68 26 is_stmt 1               ; mm_aot.py:68:26
	s_or_b32 s0, s45, s39
	.loc	1 69 18                         ; mm_aot.py:69:18
	s_cmp_ge_i32 s0, s10
	.loc	1 76 8                          ; mm_aot.py:76:8
	s_cbranch_scc0 .LBB0_80
.LBB0_70:
	.loc	1 0 8 is_stmt 0                 ; mm_aot.py:0:8
	v_mov_b32_e32 v29, 0
	.loc	1 68 26 is_stmt 1               ; mm_aot.py:68:26
	s_or_b32 s0, s46, s39
	.loc	1 69 18                         ; mm_aot.py:69:18
	s_cmp_ge_i32 s0, s10
	.loc	1 76 8                          ; mm_aot.py:76:8
	s_cbranch_scc0 .LBB0_81
.LBB0_71:
	.loc	1 0 8 is_stmt 0                 ; mm_aot.py:0:8
	v_mov_b32_e32 v30, 0
	.loc	1 68 26 is_stmt 1               ; mm_aot.py:68:26
	s_or_b32 s0, s47, s39
	.loc	1 69 18                         ; mm_aot.py:69:18
	s_cmp_ge_i32 s0, s10
	.loc	1 76 8                          ; mm_aot.py:76:8
	s_cbranch_scc0 .LBB0_82
.LBB0_72:
	.loc	1 0 8 is_stmt 0                 ; mm_aot.py:0:8
	v_mov_b32_e32 v16, 0
	.loc	1 76 8                          ; mm_aot.py:76:8
	s_branch .LBB0_83
.LBB0_73:
	.loc	1 71 13 is_stmt 1               ; mm_aot.py:71:13
	v_lshl_add_u64 v[24:25], v[34:35], 2, v[30:31]
	.loc	1 71 8 is_stmt 0                ; mm_aot.py:71:8
	global_load_dword v23, v[24:25], off
	s_or_b64 exec, exec, s[0:1]
	s_and_saveexec_b64 s[0:1], vcc
	s_cbranch_execz .LBB0_64
.LBB0_74:
	.loc	1 71 13                         ; mm_aot.py:71:13
	v_lshl_add_u64 v[24:25], v[34:35], 2, v[32:33]
	.loc	1 71 8                          ; mm_aot.py:71:8
	global_load_dword v22, v[24:25], off
	s_or_b64 exec, exec, s[0:1]
	.loc	1 68 26 is_stmt 1               ; mm_aot.py:68:26
	s_or_b32 s0, s40, s39
	.loc	1 69 18                         ; mm_aot.py:69:18
	s_cmp_ge_i32 s0, s10
	s_cbranch_scc0 .LBB0_65
.LBB0_75:
	.loc	1 0 18 is_stmt 0                ; mm_aot.py:0:18
	v_mov_b32_e32 v24, 0
	.loc	1 68 26 is_stmt 1               ; mm_aot.py:68:26
	s_or_b32 s0, s41, s39
	.loc	1 69 18                         ; mm_aot.py:69:18
	s_cmp_ge_i32 s0, s10
	.loc	1 76 8                          ; mm_aot.py:76:8
	s_cbranch_scc1 .LBB0_66
.LBB0_76:
	.loc	1 76 27 is_stmt 0               ; mm_aot.py:76:27
	s_mul_hi_i32 s1, s0, s18
	s_mul_i32 s0, s0, s18
	.loc	1 76 13                         ; mm_aot.py:76:13
	s_lshl_b64 s[0:1], s[0:1], 2
	s_add_u32 s0, s4, s0
	s_addc_u32 s1, s5, s1
	v_lshl_add_u64 v[26:27], v[16:17], 2, s[0:1]
	.loc	1 76 8                          ; mm_aot.py:76:8
	global_load_dword v25, v[26:27], off
	.loc	1 68 26 is_stmt 1               ; mm_aot.py:68:26
	s_or_b32 s0, s42, s39
	.loc	1 69 18                         ; mm_aot.py:69:18
	s_cmp_ge_i32 s0, s10
	.loc	1 76 8                          ; mm_aot.py:76:8
	s_cbranch_scc1 .LBB0_67
.LBB0_77:
	.loc	1 76 27 is_stmt 0               ; mm_aot.py:76:27
	s_mul_hi_i32 s1, s0, s18
	s_mul_i32 s0, s0, s18
	.loc	1 76 13                         ; mm_aot.py:76:13
	s_lshl_b64 s[0:1], s[0:1], 2
	s_add_u32 s0, s4, s0
	s_addc_u32 s1, s5, s1
	v_lshl_add_u64 v[26:27], v[16:17], 2, s[0:1]
	.loc	1 76 8                          ; mm_aot.py:76:8
	global_load_dword v26, v[26:27], off
	.loc	1 68 26 is_stmt 1               ; mm_aot.py:68:26
	s_or_b32 s0, s43, s39
	.loc	1 69 18                         ; mm_aot.py:69:18
	s_cmp_ge_i32 s0, s10
	.loc	1 76 8                          ; mm_aot.py:76:8
	s_cbranch_scc1 .LBB0_68
.LBB0_78:
	.loc	1 76 27 is_stmt 0               ; mm_aot.py:76:27
	s_mul_hi_i32 s1, s0, s18
	s_mul_i32 s0, s0, s18
	.loc	1 76 13                         ; mm_aot.py:76:13
	s_lshl_b64 s[0:1], s[0:1], 2
	s_add_u32 s0, s4, s0
	s_addc_u32 s1, s5, s1
	v_lshl_add_u64 v[28:29], v[16:17], 2, s[0:1]
	.loc	1 76 8                          ; mm_aot.py:76:8
	global_load_dword v27, v[28:29], off
	.loc	1 68 26 is_stmt 1               ; mm_aot.py:68:26
	s_or_b32 s0, s44, s39
	.loc	1 69 18                         ; mm_aot.py:69:18
	s_cmp_ge_i32 s0, s10
	.loc	1 76 8                          ; mm_aot.py:76:8
	s_cbranch_scc1 .LBB0_69
.LBB0_79:
	.loc	1 76 27 is_stmt 0               ; mm_aot.py:76:27
	s_mul_hi_i32 s1, s0, s18
	s_mul_i32 s0, s0, s18
	.loc	1 76 13                         ; mm_aot.py:76:13
	s_lshl_b64 s[0:1], s[0:1], 2
	s_add_u32 s0, s4, s0
	s_addc_u32 s1, s5, s1
	v_lshl_add_u64 v[28:29], v[16:17], 2, s[0:1]
	.loc	1 76 8                          ; mm_aot.py:76:8
	global_load_dword v28, v[28:29], off
	.loc	1 68 26 is_stmt 1               ; mm_aot.py:68:26
	s_or_b32 s0, s45, s39
	.loc	1 69 18                         ; mm_aot.py:69:18
	s_cmp_ge_i32 s0, s10
	.loc	1 76 8                          ; mm_aot.py:76:8
	s_cbranch_scc1 .LBB0_70
.LBB0_80:
	.loc	1 76 27 is_stmt 0               ; mm_aot.py:76:27
	s_mul_hi_i32 s1, s0, s18
	s_mul_i32 s0, s0, s18
	.loc	1 76 13                         ; mm_aot.py:76:13
	s_lshl_b64 s[0:1], s[0:1], 2
	s_add_u32 s0, s4, s0
	s_addc_u32 s1, s5, s1
	v_lshl_add_u64 v[30:31], v[16:17], 2, s[0:1]
	.loc	1 76 8                          ; mm_aot.py:76:8
	global_load_dword v29, v[30:31], off
	.loc	1 68 26 is_stmt 1               ; mm_aot.py:68:26
	s_or_b32 s0, s46, s39
	.loc	1 69 18                         ; mm_aot.py:69:18
	s_cmp_ge_i32 s0, s10
	.loc	1 76 8                          ; mm_aot.py:76:8
	s_cbranch_scc1 .LBB0_71
.LBB0_81:
	.loc	1 76 27 is_stmt 0               ; mm_aot.py:76:27
	s_mul_hi_i32 s1, s0, s18
	s_mul_i32 s0, s0, s18
	.loc	1 76 13                         ; mm_aot.py:76:13
	s_lshl_b64 s[0:1], s[0:1], 2
	s_add_u32 s0, s4, s0
	s_addc_u32 s1, s5, s1
	v_lshl_add_u64 v[30:31], v[16:17], 2, s[0:1]
	.loc	1 76 8                          ; mm_aot.py:76:8
	global_load_dword v30, v[30:31], off
	.loc	1 68 26 is_stmt 1               ; mm_aot.py:68:26
	s_or_b32 s0, s47, s39
	.loc	1 69 18                         ; mm_aot.py:69:18
	s_cmp_ge_i32 s0, s10
	.loc	1 76 8                          ; mm_aot.py:76:8
	s_cbranch_scc1 .LBB0_72
.LBB0_82:
	.loc	1 76 27 is_stmt 0               ; mm_aot.py:76:27
	s_mul_hi_i32 s1, s0, s18
	s_mul_i32 s0, s0, s18
	.loc	1 76 13                         ; mm_aot.py:76:13
	s_lshl_b64 s[0:1], s[0:1], 2
	s_add_u32 s0, s4, s0
	s_addc_u32 s1, s5, s1
	v_lshl_add_u64 v[16:17], v[16:17], 2, s[0:1]
	.loc	1 76 8                          ; mm_aot.py:76:8
	global_load_dword v16, v[16:17], off
.LBB0_83:
	.loc	1 71 8 is_stmt 1                ; mm_aot.py:71:8
	s_waitcnt lgkmcnt(0)
	s_barrier
	s_waitcnt vmcnt(0)
	ds_write2st64_b32 v59, v42, v19 offset1:8
	ds_write2st64_b32 v59, v21, v23 offset0:16 offset1:24
	ds_write2st64_b32 v60, v41, v18 offset0:4 offset1:12
	;; [unrolled: 1-line block ×3, first 2 shown]
	s_waitcnt lgkmcnt(0)
	s_barrier
	ds_read2_b32 v[18:19], v40 offset1:8
	ds_read2_b32 v[20:21], v40 offset0:16 offset1:24
	ds_read2_b32 v[22:23], v39 offset1:8
	ds_read2_b32 v[32:33], v39 offset0:16 offset1:24
	;; [unrolled: 2-line block ×4, first 2 shown]
	.loc	1 76 8                          ; mm_aot.py:76:8
	s_waitcnt lgkmcnt(0)
	s_barrier
	ds_write2st64_b32 v58, v24, v25 offset1:4
	ds_write2st64_b32 v58, v26, v27 offset0:8 offset1:12
	ds_write2st64_b32 v58, v28, v29 offset0:16 offset1:20
	;; [unrolled: 1-line block ×3, first 2 shown]
	s_waitcnt lgkmcnt(0)
	s_barrier
	ds_read2st64_b32 v[16:17], v36 offset1:2
	.loc	1 86 25                         ; mm_aot.py:86:25
	s_waitcnt lgkmcnt(0)
	v_mfma_f32_32x32x2_f32 v[0:15], v16, v18, v[0:15]
	.loc	1 43 40                         ; mm_aot.py:43:40
	s_lshr_b32 s0, s11, 2
	.loc	1 86 25                         ; mm_aot.py:86:25
	v_mfma_f32_32x32x2_f32 v[0:15], v17, v22, v[0:15]
	.loc	1 76 8                          ; mm_aot.py:76:8
	ds_read2st64_b32 v[16:17], v36 offset0:4 offset1:6
	.loc	1 86 25                         ; mm_aot.py:86:25
	s_waitcnt lgkmcnt(0)
	v_mfma_f32_32x32x2_f32 v[0:15], v16, v34, v[0:15]
	v_mfma_f32_32x32x2_f32 v[0:15], v17, v40, v[0:15]
	.loc	1 76 8                          ; mm_aot.py:76:8
	ds_read2st64_b32 v[16:17], v36 offset0:8 offset1:10
	.loc	1 86 25                         ; mm_aot.py:86:25
	s_waitcnt lgkmcnt(0)
	v_mfma_f32_32x32x2_f32 v[0:15], v16, v19, v[0:15]
	.loc	1 76 8                          ; mm_aot.py:76:8
	ds_read2st64_b32 v[18:19], v36 offset0:28 offset1:30
	.loc	1 86 25                         ; mm_aot.py:86:25
	v_mfma_f32_32x32x2_f32 v[0:15], v17, v23, v[0:15]
	.loc	1 76 8                          ; mm_aot.py:76:8
	ds_read2st64_b32 v[16:17], v36 offset0:12 offset1:14
	.loc	1 86 25                         ; mm_aot.py:86:25
	s_waitcnt lgkmcnt(0)
	v_mfma_f32_32x32x2_f32 v[0:15], v16, v35, v[0:15]
	v_mfma_f32_32x32x2_f32 v[0:15], v17, v41, v[0:15]
	.loc	1 76 8                          ; mm_aot.py:76:8
	ds_read2st64_b32 v[16:17], v36 offset0:16 offset1:18
	.loc	1 86 25                         ; mm_aot.py:86:25
	s_waitcnt lgkmcnt(0)
	v_mfma_f32_32x32x2_f32 v[0:15], v16, v20, v[0:15]
	;; [unrolled: 6-line block ×4, first 2 shown]
	.loc	1 43 40                         ; mm_aot.py:43:40
	v_or_b32_e32 v16, s0, v56
	s_lshr_b32 s0, s14, 1
	.loc	1 43 27 is_stmt 0               ; mm_aot.py:43:27
	v_or_b32_e32 v20, s33, v16
	.loc	1 93 17 is_stmt 1               ; mm_aot.py:93:17
	v_cmp_gt_i32_e32 vcc, s8, v20
	.loc	1 86 25                         ; mm_aot.py:86:25
	v_mfma_f32_32x32x2_f32 v[0:15], v17, v33, v[0:15]
	.loc	1 43 40                         ; mm_aot.py:43:40
	v_or_b32_e32 v17, s0, v57
	.loc	1 86 25                         ; mm_aot.py:86:25
	v_mfma_f32_32x32x2_f32 v[0:15], v18, v39, v[0:15]
	.loc	1 44 27                         ; mm_aot.py:44:27
	v_or_b32_e32 v18, s38, v17
	.loc	1 92 27                         ; mm_aot.py:92:27
	v_mad_i64_i32 v[16:17], s[0:1], v20, s15, 0
	.loc	1 93 37                         ; mm_aot.py:93:37
	v_cmp_gt_i32_e64 s[0:1], s9, v18
	.loc	1 92 13                         ; mm_aot.py:92:13
	v_lshl_add_u64 v[16:17], v[16:17], 2, s[6:7]
	.loc	1 93 31                         ; mm_aot.py:93:31
	s_and_b64 s[4:5], vcc, s[0:1]
	.loc	1 86 25                         ; mm_aot.py:86:25
	v_mfma_f32_32x32x2_f32 v[0:15], v19, v43, v[0:15]
	.loc	1 95 16                         ; mm_aot.py:95:16
	s_and_saveexec_b64 s[0:1], s[4:5]
	s_cbranch_execz .LBB0_85
; %bb.84:
	.loc	1 92 53                         ; mm_aot.py:92:53
	v_mad_i64_i32 v[20:21], s[4:5], v18, s2, 0
	.loc	1 92 13 is_stmt 0               ; mm_aot.py:92:13
	v_lshl_add_u64 v[20:21], v[20:21], 2, v[16:17]
	.loc	1 95 16 is_stmt 1               ; mm_aot.py:95:16
	s_nop 13
	global_store_dword v[20:21], v0, off
.LBB0_85:
	.loc	1 0 16 is_stmt 0                ; mm_aot.py:0:16
	s_or_b64 exec, exec, s[0:1]
	.loc	1 44 27 is_stmt 1               ; mm_aot.py:44:27
	s_nop 14
	v_or_b32_e32 v0, 1, v18
	.loc	1 93 37                         ; mm_aot.py:93:37
	v_cmp_gt_i32_e64 s[0:1], s9, v0
	.loc	1 93 31 is_stmt 0               ; mm_aot.py:93:31
	s_and_b64 s[4:5], vcc, s[0:1]
	.loc	1 95 16 is_stmt 1               ; mm_aot.py:95:16
	s_and_saveexec_b64 s[0:1], s[4:5]
	s_cbranch_execz .LBB0_87
; %bb.86:
	.loc	1 92 53                         ; mm_aot.py:92:53
	v_mad_i64_i32 v[20:21], s[4:5], v0, s2, 0
	.loc	1 92 13 is_stmt 0               ; mm_aot.py:92:13
	v_lshl_add_u64 v[20:21], v[20:21], 2, v[16:17]
	.loc	1 95 16 is_stmt 1               ; mm_aot.py:95:16
	global_store_dword v[20:21], v1, off
.LBB0_87:
	.loc	1 0 16 is_stmt 0                ; mm_aot.py:0:16
	s_or_b64 exec, exec, s[0:1]
	.loc	1 44 27 is_stmt 1               ; mm_aot.py:44:27
	v_or_b32_e32 v0, 2, v18
	.loc	1 93 37                         ; mm_aot.py:93:37
	v_cmp_gt_i32_e64 s[0:1], s9, v0
	.loc	1 93 31 is_stmt 0               ; mm_aot.py:93:31
	s_and_b64 s[4:5], vcc, s[0:1]
	.loc	1 95 16 is_stmt 1               ; mm_aot.py:95:16
	s_and_saveexec_b64 s[0:1], s[4:5]
	s_cbranch_execz .LBB0_89
; %bb.88:
	.loc	1 92 53                         ; mm_aot.py:92:53
	v_mad_i64_i32 v[0:1], s[4:5], v0, s2, 0
	.loc	1 92 13 is_stmt 0               ; mm_aot.py:92:13
	v_lshl_add_u64 v[0:1], v[0:1], 2, v[16:17]
	.loc	1 95 16 is_stmt 1               ; mm_aot.py:95:16
	global_store_dword v[0:1], v2, off
.LBB0_89:
	.loc	1 0 16 is_stmt 0                ; mm_aot.py:0:16
	s_or_b64 exec, exec, s[0:1]
	.loc	1 44 27 is_stmt 1               ; mm_aot.py:44:27
	;; [unrolled: 19-line block ×14, first 2 shown]
	v_or_b32_e32 v0, 27, v18
	.loc	1 93 37                         ; mm_aot.py:93:37
	v_cmp_gt_i32_e64 s[0:1], s9, v0
	.loc	1 93 31 is_stmt 0               ; mm_aot.py:93:31
	s_and_b64 s[0:1], vcc, s[0:1]
	.loc	1 95 16 is_stmt 1               ; mm_aot.py:95:16
	s_and_saveexec_b64 s[4:5], s[0:1]
	s_cbranch_execz .LBB0_115
; %bb.114:
	.loc	1 92 53                         ; mm_aot.py:92:53
	v_mad_i64_i32 v[0:1], s[0:1], v0, s2, 0
	.loc	1 92 13 is_stmt 0               ; mm_aot.py:92:13
	v_lshl_add_u64 v[0:1], v[0:1], 2, v[16:17]
	.loc	1 95 16 is_stmt 1               ; mm_aot.py:95:16
	global_store_dword v[0:1], v15, off
.LBB0_115:
	.loc	1 95 4 is_stmt 0                ; mm_aot.py:95:4
	s_endpgm
.Ltmp19:
	.section	.rodata,"a",@progbits
	.p2align	6, 0x0
	.amdhsa_kernel mm_kernel_general
		.amdhsa_group_segment_fixed_size 0
		.amdhsa_private_segment_fixed_size 0
		.amdhsa_kernarg_size 80
		.amdhsa_user_sgpr_count 16
		.amdhsa_user_sgpr_dispatch_ptr 0
		.amdhsa_user_sgpr_queue_ptr 0
		.amdhsa_user_sgpr_kernarg_segment_ptr 1
		.amdhsa_user_sgpr_dispatch_id 0
		.amdhsa_user_sgpr_kernarg_preload_length 14
		.amdhsa_user_sgpr_kernarg_preload_offset 0
		.amdhsa_user_sgpr_private_segment_size 0
		.amdhsa_uses_dynamic_stack 0
		.amdhsa_enable_private_segment 0
		.amdhsa_system_sgpr_workgroup_id_x 1
		.amdhsa_system_sgpr_workgroup_id_y 0
		.amdhsa_system_sgpr_workgroup_id_z 0
		.amdhsa_system_sgpr_workgroup_info 0
		.amdhsa_system_vgpr_workitem_id 0
		.amdhsa_next_free_vgpr 96
		.amdhsa_next_free_sgpr 54
		.amdhsa_accum_offset 96
		.amdhsa_reserve_vcc 1
		.amdhsa_reserve_xnack_mask 1
		.amdhsa_float_round_mode_32 0
		.amdhsa_float_round_mode_16_64 0
		.amdhsa_float_denorm_mode_32 3
		.amdhsa_float_denorm_mode_16_64 3
		.amdhsa_dx10_clamp 1
		.amdhsa_ieee_mode 1
		.amdhsa_fp16_overflow 0
		.amdhsa_tg_split 0
		.amdhsa_exception_fp_ieee_invalid_op 0
		.amdhsa_exception_fp_denorm_src 0
		.amdhsa_exception_fp_ieee_div_zero 0
		.amdhsa_exception_fp_ieee_overflow 0
		.amdhsa_exception_fp_ieee_underflow 0
		.amdhsa_exception_fp_ieee_inexact 0
		.amdhsa_exception_int_div_zero 0
	.end_amdhsa_kernel
	.text
.Lfunc_end0:
	.size	mm_kernel_general, .Lfunc_end0-mm_kernel_general
	.cfi_endproc
                                        ; -- End function
	.set mm_kernel_general.num_vgpr, 96
	.set mm_kernel_general.num_agpr, 0
	.set mm_kernel_general.numbered_sgpr, 54
	.set mm_kernel_general.num_named_barrier, 0
	.set mm_kernel_general.private_seg_size, 0
	.set mm_kernel_general.uses_vcc, 1
	.set mm_kernel_general.uses_flat_scratch, 0
	.set mm_kernel_general.has_dyn_sized_stack, 0
	.set mm_kernel_general.has_recursion, 0
	.set mm_kernel_general.has_indirect_call, 0
	.section	.AMDGPU.csdata,"",@progbits
; Kernel info:
; codeLenInByte = 6184
; TotalNumSgprs: 60
; NumVgprs: 96
; NumAgprs: 0
; TotalNumVgprs: 96
; ScratchSize: 0
; MemoryBound: 0
; FloatMode: 240
; IeeeMode: 1
; LDSByteSize: 0 bytes/workgroup (compile time only)
; SGPRBlocks: 7
; VGPRBlocks: 11
; NumSGPRsForWavesPerEU: 60
; NumVGPRsForWavesPerEU: 96
; AccumOffset: 96
; Occupancy: 5
; WaveLimiterHint : 0
; COMPUTE_PGM_RSRC2:SCRATCH_EN: 0
; COMPUTE_PGM_RSRC2:USER_SGPR: 16
; COMPUTE_PGM_RSRC2:TRAP_HANDLER: 0
; COMPUTE_PGM_RSRC2:TGID_X_EN: 1
; COMPUTE_PGM_RSRC2:TGID_Y_EN: 0
; COMPUTE_PGM_RSRC2:TGID_Z_EN: 0
; COMPUTE_PGM_RSRC2:TIDIG_COMP_CNT: 0
; COMPUTE_PGM_RSRC3_GFX90A:ACCUM_OFFSET: 23
; COMPUTE_PGM_RSRC3_GFX90A:TG_SPLIT: 0
	.text
	.p2alignl 6, 3212836864
	.fill 256, 4, 3212836864
	.section	.AMDGPU.gpr_maximums,"",@progbits
	.set amdgpu.max_num_vgpr, 0
	.set amdgpu.max_num_agpr, 0
	.set amdgpu.max_num_sgpr, 0
	.set amdgpu.max_num_named_barrier, 0
	.text
	.section	.debug_abbrev,"",@progbits
	.byte	1                               ; Abbreviation Code
	.byte	17                              ; DW_TAG_compile_unit
	.byte	1                               ; DW_CHILDREN_yes
	.byte	37                              ; DW_AT_producer
	.byte	14                              ; DW_FORM_strp
	.byte	19                              ; DW_AT_language
	.byte	5                               ; DW_FORM_data2
	.byte	3                               ; DW_AT_name
	.byte	14                              ; DW_FORM_strp
	.byte	16                              ; DW_AT_stmt_list
	.byte	23                              ; DW_FORM_sec_offset
	.byte	27                              ; DW_AT_comp_dir
	.byte	14                              ; DW_FORM_strp
	.byte	17                              ; DW_AT_low_pc
	.byte	1                               ; DW_FORM_addr
	.byte	18                              ; DW_AT_high_pc
	.byte	6                               ; DW_FORM_data4
	.byte	0                               ; EOM(1)
	.byte	0                               ; EOM(2)
	.byte	2                               ; Abbreviation Code
	.byte	46                              ; DW_TAG_subprogram
	.byte	0                               ; DW_CHILDREN_no
	.byte	3                               ; DW_AT_name
	.byte	14                              ; DW_FORM_strp
	.byte	32                              ; DW_AT_inline
	.byte	11                              ; DW_FORM_data1
	.byte	0                               ; EOM(1)
	.byte	0                               ; EOM(2)
	.byte	3                               ; Abbreviation Code
	.byte	46                              ; DW_TAG_subprogram
	.byte	1                               ; DW_CHILDREN_yes
	.byte	17                              ; DW_AT_low_pc
	.byte	1                               ; DW_FORM_addr
	.byte	18                              ; DW_AT_high_pc
	.byte	6                               ; DW_FORM_data4
	.byte	49                              ; DW_AT_abstract_origin
	.byte	19                              ; DW_FORM_ref4
	.byte	0                               ; EOM(1)
	.byte	0                               ; EOM(2)
	.byte	4                               ; Abbreviation Code
	.byte	29                              ; DW_TAG_inlined_subroutine
	.byte	0                               ; DW_CHILDREN_no
	.byte	49                              ; DW_AT_abstract_origin
	.byte	19                              ; DW_FORM_ref4
	.byte	17                              ; DW_AT_low_pc
	.byte	1                               ; DW_FORM_addr
	.byte	18                              ; DW_AT_high_pc
	.byte	6                               ; DW_FORM_data4
	.byte	88                              ; DW_AT_call_file
	.byte	11                              ; DW_FORM_data1
	.byte	89                              ; DW_AT_call_line
	.byte	11                              ; DW_FORM_data1
	.byte	87                              ; DW_AT_call_column
	.byte	11                              ; DW_FORM_data1
	.byte	0                               ; EOM(1)
	.byte	0                               ; EOM(2)
	.byte	5                               ; Abbreviation Code
	.byte	29                              ; DW_TAG_inlined_subroutine
	.byte	0                               ; DW_CHILDREN_no
	.byte	49                              ; DW_AT_abstract_origin
	.byte	19                              ; DW_FORM_ref4
	.byte	85                              ; DW_AT_ranges
	.byte	23                              ; DW_FORM_sec_offset
	.byte	88                              ; DW_AT_call_file
	.byte	11                              ; DW_FORM_data1
	.byte	89                              ; DW_AT_call_line
	.byte	11                              ; DW_FORM_data1
	.byte	87                              ; DW_AT_call_column
	.byte	11                              ; DW_FORM_data1
	.byte	0                               ; EOM(1)
	.byte	0                               ; EOM(2)
	.byte	6                               ; Abbreviation Code
	.byte	29                              ; DW_TAG_inlined_subroutine
	.byte	1                               ; DW_CHILDREN_yes
	.byte	49                              ; DW_AT_abstract_origin
	.byte	19                              ; DW_FORM_ref4
	.byte	85                              ; DW_AT_ranges
	.byte	23                              ; DW_FORM_sec_offset
	.byte	88                              ; DW_AT_call_file
	.byte	11                              ; DW_FORM_data1
	.byte	89                              ; DW_AT_call_line
	.byte	11                              ; DW_FORM_data1
	.byte	87                              ; DW_AT_call_column
	.byte	11                              ; DW_FORM_data1
	.byte	0                               ; EOM(1)
	.byte	0                               ; EOM(2)
	;; [unrolled: 1-line block ×3, first 2 shown]
	.section	.debug_info,"",@progbits
.Lcu_begin0:
	.long	.Ldebug_info_end0-.Ldebug_info_start0 ; Length of Unit
.Ldebug_info_start0:
	.short	4                               ; DWARF version number
	.long	.debug_abbrev                   ; Offset Into Abbrev. Section
	.byte	8                               ; Address Size (in bytes)
	.byte	1                               ; Abbrev [1] 0xb:0x71 DW_TAG_compile_unit
	.long	.Linfo_string0                  ; DW_AT_producer
	.short	2                               ; DW_AT_language
	.long	.Linfo_string1                  ; DW_AT_name
	.long	.Lline_table_start0             ; DW_AT_stmt_list
	.long	.Linfo_string2                  ; DW_AT_comp_dir
	.quad	.Lfunc_begin0                   ; DW_AT_low_pc
	.long	.Lfunc_end0-.Lfunc_begin0       ; DW_AT_high_pc
	.byte	2                               ; Abbrev [2] 0x2a:0x6 DW_TAG_subprogram
	.long	.Linfo_string3                  ; DW_AT_name
	.byte	1                               ; DW_AT_inline
	.byte	3                               ; Abbrev [3] 0x30:0x4b DW_TAG_subprogram
	.quad	.Lfunc_begin0                   ; DW_AT_low_pc
	.long	.Lfunc_end0-.Lfunc_begin0       ; DW_AT_high_pc
	.long	42                              ; DW_AT_abstract_origin
	.byte	4                               ; Abbrev [4] 0x41:0x14 DW_TAG_inlined_subroutine
	.long	42                              ; DW_AT_abstract_origin
	.quad	.Ltmp1                          ; DW_AT_low_pc
	.long	.Ltmp2-.Ltmp1                   ; DW_AT_high_pc
	.byte	1                               ; DW_AT_call_file
	.byte	35                              ; DW_AT_call_line
	.byte	24                              ; DW_AT_call_column
	.byte	5                               ; Abbrev [5] 0x55:0xc DW_TAG_inlined_subroutine
	.long	42                              ; DW_AT_abstract_origin
	.long	.Ldebug_ranges0                 ; DW_AT_ranges
	.byte	1                               ; DW_AT_call_file
	.byte	34                              ; DW_AT_call_line
	.byte	24                              ; DW_AT_call_column
	.byte	6                               ; Abbrev [6] 0x61:0x19 DW_TAG_inlined_subroutine
	.long	42                              ; DW_AT_abstract_origin
	.long	.Ldebug_ranges1                 ; DW_AT_ranges
	;; [unrolled: 6-line block ×3, first 2 shown]
	.byte	1                               ; DW_AT_call_file
	.byte	10                              ; DW_AT_call_line
	.byte	22                              ; DW_AT_call_column
	.byte	0                               ; End Of Children Mark
	.byte	0                               ; End Of Children Mark
	;; [unrolled: 1-line block ×3, first 2 shown]
.Ldebug_info_end0:
	.section	.debug_ranges,"",@progbits
.Ldebug_ranges0:
	.quad	.Ltmp3-.Lfunc_begin0
	.quad	.Ltmp4-.Lfunc_begin0
	;; [unrolled: 1-line block ×8, first 2 shown]
	.quad	0
	.quad	0
.Ldebug_ranges1:
	.quad	.Ltmp11-.Lfunc_begin0
	.quad	.Ltmp12-.Lfunc_begin0
	;; [unrolled: 1-line block ×8, first 2 shown]
	.quad	0
	.quad	0
.Ldebug_ranges2:
	.quad	.Ltmp11-.Lfunc_begin0
	.quad	.Ltmp12-.Lfunc_begin0
	;; [unrolled: 1-line block ×4, first 2 shown]
	.quad	0
	.quad	0
	.section	.debug_str,"MS",@progbits,1
.Linfo_string0:
	.asciz	"triton"                        ; string offset=0
.Linfo_string1:
	.asciz	"mm_aot.py"                     ; string offset=7
.Linfo_string2:
	.asciz	"/root/src/amdgpu-assembly/repos/FlagOpen__FlagGems/triton_aot_kernels" ; string offset=17
.Linfo_string3:
	.asciz	"mm_kernel_general"             ; string offset=87
	.section	".note.GNU-stack","",@progbits
	.amdgpu_metadata
---
amdhsa.kernels:
  - .agpr_count:     0
    .args:
      - .address_space:  global
        .offset:         0
        .size:           8
        .value_kind:     global_buffer
      - .address_space:  global
        .offset:         8
        .size:           8
        .value_kind:     global_buffer
      - .address_space:  global
        .offset:         16
        .size:           8
        .value_kind:     global_buffer
      - .offset:         24
        .size:           4
        .value_kind:     by_value
      - .offset:         28
        .size:           4
        .value_kind:     by_value
      - .offset:         32
        .size:           4
        .value_kind:     by_value
      - .offset:         36
        .size:           4
        .value_kind:     by_value
      - .offset:         40
        .size:           4
        .value_kind:     by_value
      - .offset:         44
        .size:           4
        .value_kind:     by_value
      - .offset:         48
        .size:           4
        .value_kind:     by_value
      - .offset:         52
        .size:           4
        .value_kind:     by_value
      - .offset:         56
        .size:           4
        .value_kind:     by_value
      - .address_space:  global
        .offset:         64
        .size:           8
        .value_kind:     global_buffer
      - .address_space:  global
        .offset:         72
        .size:           8
        .value_kind:     global_buffer
    .group_segment_fixed_size: 0
    .kernarg_segment_align: 8
    .kernarg_segment_size: 80
    .max_flat_workgroup_size: 256
    .name:           mm_kernel_general
    .private_segment_fixed_size: 0
    .sgpr_count:     60
    .sgpr_spill_count: 0
    .symbol:         mm_kernel_general.kd
    .uniform_work_group_size: 1
    .uses_dynamic_stack: false
    .vgpr_count:     96
    .vgpr_spill_count: 0
    .wavefront_size: 64
amdhsa.target:   amdgcn-amd-amdhsa--gfx950
amdhsa.version:
  - 1
  - 2
...

	.end_amdgpu_metadata
	.section	.debug_line,"",@progbits
.Lline_table_start0:
